;; amdgpu-corpus repo=ROCm/rocFFT kind=compiled arch=gfx1201 opt=O3
	.text
	.amdgcn_target "amdgcn-amd-amdhsa--gfx1201"
	.amdhsa_code_object_version 6
	.protected	fft_rtc_back_len264_factors_8_3_11_wgs_231_tpt_33_dp_op_CI_CI_sbrr_dirReg ; -- Begin function fft_rtc_back_len264_factors_8_3_11_wgs_231_tpt_33_dp_op_CI_CI_sbrr_dirReg
	.globl	fft_rtc_back_len264_factors_8_3_11_wgs_231_tpt_33_dp_op_CI_CI_sbrr_dirReg
	.p2align	8
	.type	fft_rtc_back_len264_factors_8_3_11_wgs_231_tpt_33_dp_op_CI_CI_sbrr_dirReg,@function
fft_rtc_back_len264_factors_8_3_11_wgs_231_tpt_33_dp_op_CI_CI_sbrr_dirReg: ; @fft_rtc_back_len264_factors_8_3_11_wgs_231_tpt_33_dp_op_CI_CI_sbrr_dirReg
; %bb.0:
	s_clause 0x1
	s_load_b128 s[12:15], s[0:1], 0x18
	s_load_b128 s[8:11], s[0:1], 0x0
	v_mul_u32_u24_e32 v1, 0x7c2, v0
	v_mov_b32_e32 v4, 0
	s_load_b128 s[4:7], s[0:1], 0x58
	s_wait_kmcnt 0x0
	s_load_b64 s[18:19], s[12:13], 0x0
	s_load_b64 s[16:17], s[14:15], 0x0
	v_lshrrev_b32_e32 v2, 16, v1
	v_mov_b32_e32 v1, 0
	v_cmp_lt_u64_e64 s2, s[10:11], 2
	s_delay_alu instid0(VALU_DEP_3) | instskip(NEXT) | instid1(VALU_DEP_3)
	v_mad_co_u64_u32 v[32:33], null, ttmp9, 7, v[2:3]
	v_mov_b32_e32 v33, v1
	v_mov_b32_e32 v5, 0
	s_delay_alu instid0(VALU_DEP_4) | instskip(NEXT) | instid1(VALU_DEP_2)
	s_and_b32 vcc_lo, exec_lo, s2
	v_dual_mov_b32 v87, v33 :: v_dual_mov_b32 v86, v32
	s_delay_alu instid0(VALU_DEP_2)
	v_dual_mov_b32 v85, v5 :: v_dual_mov_b32 v84, v4
	s_cbranch_vccnz .LBB0_8
; %bb.1:
	s_load_b64 s[2:3], s[0:1], 0x10
	v_mov_b32_e32 v4, 0
	v_dual_mov_b32 v5, 0 :: v_dual_mov_b32 v6, v32
	v_mov_b32_e32 v7, v33
	s_add_nc_u64 s[20:21], s[14:15], 8
	s_add_nc_u64 s[22:23], s[12:13], 8
	s_delay_alu instid0(VALU_DEP_2)
	v_dual_mov_b32 v85, v5 :: v_dual_mov_b32 v84, v4
	s_mov_b64 s[24:25], 1
	s_wait_kmcnt 0x0
	s_add_nc_u64 s[26:27], s[2:3], 8
	s_mov_b32 s3, 0
.LBB0_2:                                ; =>This Inner Loop Header: Depth=1
	s_load_b64 s[28:29], s[26:27], 0x0
                                        ; implicit-def: $vgpr86_vgpr87
	s_mov_b32 s2, exec_lo
	s_wait_kmcnt 0x0
	v_or_b32_e32 v2, s29, v7
	s_delay_alu instid0(VALU_DEP_1)
	v_cmpx_ne_u64_e32 0, v[1:2]
	s_wait_alu 0xfffe
	s_xor_b32 s30, exec_lo, s2
	s_cbranch_execz .LBB0_4
; %bb.3:                                ;   in Loop: Header=BB0_2 Depth=1
	s_cvt_f32_u32 s2, s28
	s_cvt_f32_u32 s31, s29
	s_sub_nc_u64 s[36:37], 0, s[28:29]
	s_wait_alu 0xfffe
	s_delay_alu instid0(SALU_CYCLE_1) | instskip(SKIP_1) | instid1(SALU_CYCLE_2)
	s_fmamk_f32 s2, s31, 0x4f800000, s2
	s_wait_alu 0xfffe
	v_s_rcp_f32 s2, s2
	s_delay_alu instid0(TRANS32_DEP_1) | instskip(SKIP_1) | instid1(SALU_CYCLE_2)
	s_mul_f32 s2, s2, 0x5f7ffffc
	s_wait_alu 0xfffe
	s_mul_f32 s31, s2, 0x2f800000
	s_wait_alu 0xfffe
	s_delay_alu instid0(SALU_CYCLE_2) | instskip(SKIP_1) | instid1(SALU_CYCLE_2)
	s_trunc_f32 s31, s31
	s_wait_alu 0xfffe
	s_fmamk_f32 s2, s31, 0xcf800000, s2
	s_cvt_u32_f32 s35, s31
	s_wait_alu 0xfffe
	s_delay_alu instid0(SALU_CYCLE_1) | instskip(SKIP_1) | instid1(SALU_CYCLE_2)
	s_cvt_u32_f32 s34, s2
	s_wait_alu 0xfffe
	s_mul_u64 s[38:39], s[36:37], s[34:35]
	s_wait_alu 0xfffe
	s_mul_hi_u32 s41, s34, s39
	s_mul_i32 s40, s34, s39
	s_mul_hi_u32 s2, s34, s38
	s_mul_i32 s33, s35, s38
	s_wait_alu 0xfffe
	s_add_nc_u64 s[40:41], s[2:3], s[40:41]
	s_mul_hi_u32 s31, s35, s38
	s_mul_hi_u32 s42, s35, s39
	s_add_co_u32 s2, s40, s33
	s_wait_alu 0xfffe
	s_add_co_ci_u32 s2, s41, s31
	s_mul_i32 s38, s35, s39
	s_add_co_ci_u32 s39, s42, 0
	s_wait_alu 0xfffe
	s_add_nc_u64 s[38:39], s[2:3], s[38:39]
	s_wait_alu 0xfffe
	v_add_co_u32 v2, s2, s34, s38
	s_delay_alu instid0(VALU_DEP_1) | instskip(SKIP_1) | instid1(VALU_DEP_1)
	s_cmp_lg_u32 s2, 0
	s_add_co_ci_u32 s35, s35, s39
	v_readfirstlane_b32 s34, v2
	s_wait_alu 0xfffe
	s_delay_alu instid0(VALU_DEP_1)
	s_mul_u64 s[36:37], s[36:37], s[34:35]
	s_wait_alu 0xfffe
	s_mul_hi_u32 s39, s34, s37
	s_mul_i32 s38, s34, s37
	s_mul_hi_u32 s2, s34, s36
	s_mul_i32 s33, s35, s36
	s_wait_alu 0xfffe
	s_add_nc_u64 s[38:39], s[2:3], s[38:39]
	s_mul_hi_u32 s31, s35, s36
	s_mul_hi_u32 s34, s35, s37
	s_wait_alu 0xfffe
	s_add_co_u32 s2, s38, s33
	s_add_co_ci_u32 s2, s39, s31
	s_mul_i32 s36, s35, s37
	s_add_co_ci_u32 s37, s34, 0
	s_wait_alu 0xfffe
	s_add_nc_u64 s[36:37], s[2:3], s[36:37]
	s_wait_alu 0xfffe
	v_add_co_u32 v8, s2, v2, s36
	s_delay_alu instid0(VALU_DEP_1) | instskip(SKIP_1) | instid1(VALU_DEP_1)
	s_cmp_lg_u32 s2, 0
	s_add_co_ci_u32 s2, s35, s37
	v_mul_hi_u32 v12, v6, v8
	s_wait_alu 0xfffe
	v_mad_co_u64_u32 v[2:3], null, v6, s2, 0
	v_mad_co_u64_u32 v[8:9], null, v7, v8, 0
	;; [unrolled: 1-line block ×3, first 2 shown]
	s_delay_alu instid0(VALU_DEP_3) | instskip(SKIP_1) | instid1(VALU_DEP_4)
	v_add_co_u32 v2, vcc_lo, v12, v2
	s_wait_alu 0xfffd
	v_add_co_ci_u32_e32 v3, vcc_lo, 0, v3, vcc_lo
	s_delay_alu instid0(VALU_DEP_2) | instskip(SKIP_1) | instid1(VALU_DEP_2)
	v_add_co_u32 v2, vcc_lo, v2, v8
	s_wait_alu 0xfffd
	v_add_co_ci_u32_e32 v2, vcc_lo, v3, v9, vcc_lo
	s_wait_alu 0xfffd
	v_add_co_ci_u32_e32 v3, vcc_lo, 0, v11, vcc_lo
	s_delay_alu instid0(VALU_DEP_2) | instskip(SKIP_1) | instid1(VALU_DEP_2)
	v_add_co_u32 v8, vcc_lo, v2, v10
	s_wait_alu 0xfffd
	v_add_co_ci_u32_e32 v9, vcc_lo, 0, v3, vcc_lo
	s_delay_alu instid0(VALU_DEP_2) | instskip(SKIP_1) | instid1(VALU_DEP_3)
	v_mul_lo_u32 v10, s29, v8
	v_mad_co_u64_u32 v[2:3], null, s28, v8, 0
	v_mul_lo_u32 v11, s28, v9
	s_delay_alu instid0(VALU_DEP_2) | instskip(NEXT) | instid1(VALU_DEP_2)
	v_sub_co_u32 v2, vcc_lo, v6, v2
	v_add3_u32 v3, v3, v11, v10
	s_delay_alu instid0(VALU_DEP_1) | instskip(SKIP_1) | instid1(VALU_DEP_1)
	v_sub_nc_u32_e32 v10, v7, v3
	s_wait_alu 0xfffd
	v_subrev_co_ci_u32_e64 v10, s2, s29, v10, vcc_lo
	v_add_co_u32 v11, s2, v8, 2
	s_wait_alu 0xf1ff
	v_add_co_ci_u32_e64 v12, s2, 0, v9, s2
	v_sub_co_u32 v13, s2, v2, s28
	v_sub_co_ci_u32_e32 v3, vcc_lo, v7, v3, vcc_lo
	s_wait_alu 0xf1ff
	v_subrev_co_ci_u32_e64 v10, s2, 0, v10, s2
	s_delay_alu instid0(VALU_DEP_3) | instskip(NEXT) | instid1(VALU_DEP_3)
	v_cmp_le_u32_e32 vcc_lo, s28, v13
	v_cmp_eq_u32_e64 s2, s29, v3
	s_wait_alu 0xfffd
	v_cndmask_b32_e64 v13, 0, -1, vcc_lo
	v_cmp_le_u32_e32 vcc_lo, s29, v10
	s_wait_alu 0xfffd
	v_cndmask_b32_e64 v14, 0, -1, vcc_lo
	v_cmp_le_u32_e32 vcc_lo, s28, v2
	;; [unrolled: 3-line block ×3, first 2 shown]
	s_wait_alu 0xfffd
	v_cndmask_b32_e64 v15, 0, -1, vcc_lo
	v_cmp_eq_u32_e32 vcc_lo, s29, v10
	s_wait_alu 0xf1ff
	s_delay_alu instid0(VALU_DEP_2)
	v_cndmask_b32_e64 v2, v15, v2, s2
	s_wait_alu 0xfffd
	v_cndmask_b32_e32 v10, v14, v13, vcc_lo
	v_add_co_u32 v13, vcc_lo, v8, 1
	s_wait_alu 0xfffd
	v_add_co_ci_u32_e32 v14, vcc_lo, 0, v9, vcc_lo
	s_delay_alu instid0(VALU_DEP_3) | instskip(SKIP_1) | instid1(VALU_DEP_2)
	v_cmp_ne_u32_e32 vcc_lo, 0, v10
	s_wait_alu 0xfffd
	v_dual_cndmask_b32 v3, v14, v12 :: v_dual_cndmask_b32 v10, v13, v11
	v_cmp_ne_u32_e32 vcc_lo, 0, v2
	s_wait_alu 0xfffd
	s_delay_alu instid0(VALU_DEP_2)
	v_dual_cndmask_b32 v87, v9, v3 :: v_dual_cndmask_b32 v86, v8, v10
.LBB0_4:                                ;   in Loop: Header=BB0_2 Depth=1
	s_wait_alu 0xfffe
	s_and_not1_saveexec_b32 s2, s30
	s_cbranch_execz .LBB0_6
; %bb.5:                                ;   in Loop: Header=BB0_2 Depth=1
	v_cvt_f32_u32_e32 v2, s28
	s_sub_co_i32 s30, 0, s28
	v_mov_b32_e32 v87, v1
	s_delay_alu instid0(VALU_DEP_2) | instskip(NEXT) | instid1(TRANS32_DEP_1)
	v_rcp_iflag_f32_e32 v2, v2
	v_mul_f32_e32 v2, 0x4f7ffffe, v2
	s_delay_alu instid0(VALU_DEP_1) | instskip(SKIP_1) | instid1(VALU_DEP_1)
	v_cvt_u32_f32_e32 v2, v2
	s_wait_alu 0xfffe
	v_mul_lo_u32 v3, s30, v2
	s_delay_alu instid0(VALU_DEP_1) | instskip(NEXT) | instid1(VALU_DEP_1)
	v_mul_hi_u32 v3, v2, v3
	v_add_nc_u32_e32 v2, v2, v3
	s_delay_alu instid0(VALU_DEP_1) | instskip(NEXT) | instid1(VALU_DEP_1)
	v_mul_hi_u32 v2, v6, v2
	v_mul_lo_u32 v3, v2, s28
	v_add_nc_u32_e32 v8, 1, v2
	s_delay_alu instid0(VALU_DEP_2) | instskip(NEXT) | instid1(VALU_DEP_1)
	v_sub_nc_u32_e32 v3, v6, v3
	v_subrev_nc_u32_e32 v9, s28, v3
	v_cmp_le_u32_e32 vcc_lo, s28, v3
	s_wait_alu 0xfffd
	s_delay_alu instid0(VALU_DEP_2) | instskip(NEXT) | instid1(VALU_DEP_1)
	v_dual_cndmask_b32 v3, v3, v9 :: v_dual_cndmask_b32 v2, v2, v8
	v_cmp_le_u32_e32 vcc_lo, s28, v3
	s_delay_alu instid0(VALU_DEP_2) | instskip(SKIP_1) | instid1(VALU_DEP_1)
	v_add_nc_u32_e32 v8, 1, v2
	s_wait_alu 0xfffd
	v_cndmask_b32_e32 v86, v2, v8, vcc_lo
.LBB0_6:                                ;   in Loop: Header=BB0_2 Depth=1
	s_wait_alu 0xfffe
	s_or_b32 exec_lo, exec_lo, s2
	v_mul_lo_u32 v8, v87, s28
	s_delay_alu instid0(VALU_DEP_2)
	v_mul_lo_u32 v9, v86, s29
	s_load_b64 s[30:31], s[22:23], 0x0
	v_mad_co_u64_u32 v[2:3], null, v86, s28, 0
	s_load_b64 s[28:29], s[20:21], 0x0
	s_add_nc_u64 s[24:25], s[24:25], 1
	s_add_nc_u64 s[20:21], s[20:21], 8
	s_wait_alu 0xfffe
	v_cmp_ge_u64_e64 s2, s[24:25], s[10:11]
	s_add_nc_u64 s[22:23], s[22:23], 8
	s_add_nc_u64 s[26:27], s[26:27], 8
	v_add3_u32 v3, v3, v9, v8
	v_sub_co_u32 v2, vcc_lo, v6, v2
	s_wait_alu 0xfffd
	s_delay_alu instid0(VALU_DEP_2) | instskip(SKIP_2) | instid1(VALU_DEP_1)
	v_sub_co_ci_u32_e32 v3, vcc_lo, v7, v3, vcc_lo
	s_and_b32 vcc_lo, exec_lo, s2
	s_wait_kmcnt 0x0
	v_mul_lo_u32 v6, s30, v3
	v_mul_lo_u32 v7, s31, v2
	v_mad_co_u64_u32 v[4:5], null, s30, v2, v[4:5]
	v_mul_lo_u32 v3, s28, v3
	v_mul_lo_u32 v8, s29, v2
	v_mad_co_u64_u32 v[84:85], null, s28, v2, v[84:85]
	s_delay_alu instid0(VALU_DEP_4) | instskip(NEXT) | instid1(VALU_DEP_2)
	v_add3_u32 v5, v7, v5, v6
	v_add3_u32 v85, v8, v85, v3
	s_wait_alu 0xfffe
	s_cbranch_vccnz .LBB0_8
; %bb.7:                                ;   in Loop: Header=BB0_2 Depth=1
	v_dual_mov_b32 v6, v86 :: v_dual_mov_b32 v7, v87
	s_branch .LBB0_2
.LBB0_8:
	s_load_b64 s[0:1], s[0:1], 0x28
	v_mul_hi_u32 v1, 0x7c1f07d, v0
	s_lshl_b64 s[10:11], s[10:11], 3
                                        ; implicit-def: $vgpr88
                                        ; implicit-def: $vgpr37
                                        ; implicit-def: $vgpr36
	s_wait_kmcnt 0x0
	v_cmp_gt_u64_e32 vcc_lo, s[0:1], v[86:87]
	v_cmp_le_u64_e64 s0, s[0:1], v[86:87]
	s_delay_alu instid0(VALU_DEP_1)
	s_and_saveexec_b32 s1, s0
	s_wait_alu 0xfffe
	s_xor_b32 s0, exec_lo, s1
; %bb.9:
	v_mul_u32_u24_e32 v1, 33, v1
                                        ; implicit-def: $vgpr4_vgpr5
	s_delay_alu instid0(VALU_DEP_1) | instskip(NEXT) | instid1(VALU_DEP_1)
	v_sub_nc_u32_e32 v88, v0, v1
                                        ; implicit-def: $vgpr1
                                        ; implicit-def: $vgpr0
	v_add_nc_u32_e32 v37, 33, v88
	v_add_nc_u32_e32 v36, 0x42, v88
; %bb.10:
	s_wait_alu 0xfffe
	s_or_saveexec_b32 s1, s0
	s_add_nc_u64 s[2:3], s[14:15], s[10:11]
                                        ; implicit-def: $vgpr2_vgpr3
                                        ; implicit-def: $vgpr10_vgpr11
                                        ; implicit-def: $vgpr30_vgpr31
                                        ; implicit-def: $vgpr26_vgpr27
                                        ; implicit-def: $vgpr18_vgpr19
                                        ; implicit-def: $vgpr22_vgpr23
                                        ; implicit-def: $vgpr14_vgpr15
                                        ; implicit-def: $vgpr6_vgpr7
	s_wait_alu 0xfffe
	s_xor_b32 exec_lo, exec_lo, s1
	s_cbranch_execz .LBB0_12
; %bb.11:
	s_add_nc_u64 s[10:11], s[12:13], s[10:11]
	v_mul_u32_u24_e32 v1, 33, v1
	s_load_b64 s[10:11], s[10:11], 0x0
	v_lshlrev_b64_e32 v[4:5], 4, v[4:5]
	s_delay_alu instid0(VALU_DEP_2) | instskip(NEXT) | instid1(VALU_DEP_1)
	v_sub_nc_u32_e32 v88, v0, v1
	v_mad_co_u64_u32 v[0:1], null, s18, v88, 0
	v_add_nc_u32_e32 v15, 0x63, v88
	v_add_nc_u32_e32 v20, 0xa5, v88
	;; [unrolled: 1-line block ×3, first 2 shown]
	s_wait_kmcnt 0x0
	v_mul_lo_u32 v12, s11, v86
	v_mul_lo_u32 v13, s10, v87
	v_mad_co_u64_u32 v[2:3], null, s10, v86, 0
	s_delay_alu instid0(VALU_DEP_1) | instskip(NEXT) | instid1(VALU_DEP_2)
	v_add3_u32 v3, v3, v13, v12
	v_mad_co_u64_u32 v[10:11], null, s19, v88, v[1:2]
	v_mad_co_u64_u32 v[11:12], null, s18, v15, 0
	s_delay_alu instid0(VALU_DEP_3) | instskip(SKIP_1) | instid1(VALU_DEP_4)
	v_lshlrev_b64_e32 v[2:3], 4, v[2:3]
	v_add_nc_u32_e32 v37, 33, v88
	v_dual_mov_b32 v1, v10 :: v_dual_add_nc_u32 v36, 0x42, v88
	s_delay_alu instid0(VALU_DEP_3) | instskip(SKIP_1) | instid1(VALU_DEP_4)
	v_add_co_u32 v2, s0, s4, v2
	s_wait_alu 0xf1ff
	v_add_co_ci_u32_e64 v3, s0, s5, v3, s0
	s_delay_alu instid0(VALU_DEP_3) | instskip(NEXT) | instid1(VALU_DEP_3)
	v_mad_co_u64_u32 v[8:9], null, s18, v36, 0
	v_add_co_u32 v27, s0, v2, v4
	v_mov_b32_e32 v4, v12
	v_mad_co_u64_u32 v[6:7], null, s18, v37, 0
	v_lshlrev_b64_e32 v[0:1], 4, v[0:1]
	v_mad_co_u64_u32 v[9:10], null, s19, v36, v[9:10]
	s_wait_alu 0xf1ff
	v_add_co_ci_u32_e64 v28, s0, v3, v5, s0
	s_delay_alu instid0(VALU_DEP_4)
	v_mad_co_u64_u32 v[13:14], null, s19, v37, v[7:8]
	v_add_nc_u32_e32 v18, 0x84, v88
	v_add_co_u32 v0, s0, v27, v0
	v_lshlrev_b64_e32 v[8:9], 4, v[8:9]
	s_wait_alu 0xf1ff
	v_add_co_ci_u32_e64 v1, s0, v28, v1, s0
	v_mov_b32_e32 v7, v13
	v_mad_co_u64_u32 v[13:14], null, s18, v18, 0
	s_delay_alu instid0(VALU_DEP_2) | instskip(NEXT) | instid1(VALU_DEP_2)
	v_lshlrev_b64_e32 v[2:3], 4, v[6:7]
	v_mov_b32_e32 v10, v14
	v_mad_co_u64_u32 v[15:16], null, s19, v15, v[4:5]
	v_mad_co_u64_u32 v[16:17], null, s18, v20, 0
	s_delay_alu instid0(VALU_DEP_4) | instskip(SKIP_2) | instid1(VALU_DEP_4)
	v_add_co_u32 v2, s0, v27, v2
	s_wait_alu 0xf1ff
	v_add_co_ci_u32_e64 v3, s0, v28, v3, s0
	v_mov_b32_e32 v12, v15
	v_mad_co_u64_u32 v[14:15], null, s19, v18, v[10:11]
	v_dual_mov_b32 v10, v17 :: v_dual_add_nc_u32 v15, 0xe7, v88
	v_mad_co_u64_u32 v[18:19], null, s18, v23, 0
	v_add_co_u32 v8, s0, v27, v8
	s_delay_alu instid0(VALU_DEP_3)
	v_mad_co_u64_u32 v[20:21], null, s19, v20, v[10:11]
	v_lshlrev_b64_e32 v[11:12], 4, v[11:12]
	v_mad_co_u64_u32 v[21:22], null, s18, v15, 0
	v_mov_b32_e32 v10, v19
	s_wait_alu 0xf1ff
	v_add_co_ci_u32_e64 v9, s0, v28, v9, s0
	v_mov_b32_e32 v17, v20
	s_clause 0x1
	global_load_b128 v[4:7], v[0:1], off
	global_load_b128 v[0:3], v[2:3], off
	v_mad_co_u64_u32 v[19:20], null, s19, v23, v[10:11]
	v_add_co_u32 v23, s0, v27, v11
	s_wait_alu 0xf1ff
	v_add_co_ci_u32_e64 v24, s0, v28, v12, s0
	v_lshlrev_b64_e32 v[11:12], 4, v[13:14]
	v_mov_b32_e32 v10, v22
	s_delay_alu instid0(VALU_DEP_1)
	v_mad_co_u64_u32 v[13:14], null, s19, v15, v[10:11]
	v_lshlrev_b64_e32 v[14:15], 4, v[16:17]
	v_add_co_u32 v16, s0, v27, v11
	v_lshlrev_b64_e32 v[10:11], 4, v[18:19]
	s_wait_alu 0xf1ff
	v_add_co_ci_u32_e64 v17, s0, v28, v12, s0
	v_mov_b32_e32 v22, v13
	v_add_co_u32 v18, s0, v27, v14
	s_wait_alu 0xf1ff
	v_add_co_ci_u32_e64 v19, s0, v28, v15, s0
	s_delay_alu instid0(VALU_DEP_3) | instskip(SKIP_3) | instid1(VALU_DEP_3)
	v_lshlrev_b64_e32 v[12:13], 4, v[21:22]
	v_add_co_u32 v25, s0, v27, v10
	s_wait_alu 0xf1ff
	v_add_co_ci_u32_e64 v26, s0, v28, v11, s0
	v_add_co_u32 v33, s0, v27, v12
	s_wait_alu 0xf1ff
	v_add_co_ci_u32_e64 v34, s0, v28, v13, s0
	s_clause 0x5
	global_load_b128 v[12:15], v[8:9], off
	global_load_b128 v[8:11], v[23:24], off
	;; [unrolled: 1-line block ×6, first 2 shown]
.LBB0_12:
	s_or_b32 exec_lo, exec_lo, s1
	s_wait_loadcnt 0x3
	v_add_f64_e64 v[28:29], v[4:5], -v[28:29]
	v_add_f64_e64 v[30:31], v[6:7], -v[30:31]
	s_wait_loadcnt 0x1
	v_add_f64_e64 v[24:25], v[12:13], -v[24:25]
	v_add_f64_e64 v[26:27], v[14:15], -v[26:27]
	;; [unrolled: 1-line block ×4, first 2 shown]
	s_wait_loadcnt 0x0
	v_add_f64_e64 v[16:17], v[8:9], -v[16:17]
	v_add_f64_e64 v[18:19], v[10:11], -v[18:19]
	s_mov_b32 s0, 0x667f3bcd
	s_mov_b32 s1, 0xbfe6a09e
	;; [unrolled: 1-line block ×3, first 2 shown]
	s_wait_alu 0xfffe
	s_mov_b32 s4, s0
	s_load_b64 s[2:3], s[2:3], 0x0
	v_fma_f64 v[4:5], v[4:5], 2.0, -v[28:29]
	v_fma_f64 v[6:7], v[6:7], 2.0, -v[30:31]
	;; [unrolled: 1-line block ×8, first 2 shown]
	v_add_f64_e32 v[26:27], v[26:27], v[28:29]
	v_add_f64_e64 v[24:25], v[30:31], -v[24:25]
	v_add_f64_e32 v[18:19], v[18:19], v[20:21]
	v_add_f64_e64 v[16:17], v[22:23], -v[16:17]
	v_add_f64_e64 v[33:34], v[4:5], -v[12:13]
	;; [unrolled: 1-line block ×5, first 2 shown]
	v_fma_f64 v[28:29], v[28:29], 2.0, -v[26:27]
	v_fma_f64 v[30:31], v[30:31], 2.0, -v[24:25]
	;; [unrolled: 1-line block ×4, first 2 shown]
	v_fma_f64 v[20:21], v[18:19], s[4:5], v[26:27]
	v_fma_f64 v[22:23], v[16:17], s[4:5], v[24:25]
	v_fma_f64 v[40:41], v[4:5], 2.0, -v[33:34]
	v_fma_f64 v[42:43], v[6:7], 2.0, -v[38:39]
	;; [unrolled: 1-line block ×4, first 2 shown]
	v_add_f64_e32 v[0:1], v[10:11], v[33:34]
	v_add_f64_e64 v[2:3], v[38:39], -v[8:9]
	v_fma_f64 v[48:49], v[14:15], s[0:1], v[28:29]
	v_fma_f64 v[50:51], v[12:13], s[0:1], v[30:31]
	;; [unrolled: 1-line block ×4, first 2 shown]
	v_mul_hi_u32 v16, 0x24924925, v32
	s_delay_alu instid0(VALU_DEP_1) | instskip(NEXT) | instid1(VALU_DEP_1)
	v_sub_nc_u32_e32 v17, v32, v16
	v_lshrrev_b32_e32 v17, 1, v17
	s_delay_alu instid0(VALU_DEP_1) | instskip(NEXT) | instid1(VALU_DEP_1)
	v_add_nc_u32_e32 v16, v17, v16
	v_lshrrev_b32_e32 v35, 2, v16
	v_add_f64_e64 v[8:9], v[40:41], -v[44:45]
	v_add_f64_e64 v[10:11], v[42:43], -v[46:47]
	v_fma_f64 v[16:17], v[33:34], 2.0, -v[0:1]
	v_fma_f64 v[18:19], v[38:39], 2.0, -v[2:3]
	v_fma_f64 v[12:13], v[12:13], s[4:5], v[48:49]
	v_fma_f64 v[14:15], v[14:15], s[0:1], v[50:51]
	v_fma_f64 v[20:21], v[26:27], 2.0, -v[4:5]
	v_fma_f64 v[22:23], v[24:25], 2.0, -v[6:7]
	v_mul_lo_u32 v33, v35, 7
	v_cmp_gt_u32_e64 s0, 22, v88
	s_delay_alu instid0(VALU_DEP_2) | instskip(NEXT) | instid1(VALU_DEP_1)
	v_sub_nc_u32_e32 v32, v32, v33
	v_mul_u32_u24_e32 v32, 0x108, v32
	s_delay_alu instid0(VALU_DEP_1) | instskip(SKIP_1) | instid1(VALU_DEP_2)
	v_lshl_add_u32 v33, v32, 4, 0
	v_lshlrev_b32_e32 v38, 4, v32
	v_lshl_add_u32 v34, v88, 7, v33
	v_fma_f64 v[24:25], v[40:41], 2.0, -v[8:9]
	v_fma_f64 v[26:27], v[42:43], 2.0, -v[10:11]
	v_lshl_add_u32 v41, v88, 4, v33
	s_delay_alu instid0(VALU_DEP_4)
	v_mad_i32_i24 v40, 0xffffff90, v88, v34
	v_fma_f64 v[28:29], v[28:29], 2.0, -v[12:13]
	v_fma_f64 v[30:31], v[30:31], 2.0, -v[14:15]
	v_lshl_add_u32 v33, v37, 4, v33
	ds_store_b128 v34, v[0:3] offset:96
	ds_store_b128 v34, v[4:7] offset:112
	;; [unrolled: 1-line block ×6, first 2 shown]
	ds_store_b128 v34, v[24:27]
	ds_store_b128 v34, v[28:31] offset:16
	global_wb scope:SCOPE_SE
	s_wait_dscnt 0x0
	s_wait_kmcnt 0x0
	s_barrier_signal -1
	s_barrier_wait -1
	global_inv scope:SCOPE_SE
	ds_load_b128 v[8:11], v41
	ds_load_b128 v[20:23], v40 offset:1408
	ds_load_b128 v[24:27], v40 offset:2816
	;; [unrolled: 1-line block ×3, first 2 shown]
	ds_load_b128 v[12:15], v33
	ds_load_b128 v[28:31], v40 offset:3344
                                        ; implicit-def: $vgpr34_vgpr35
	s_and_saveexec_b32 s1, s0
	s_cbranch_execz .LBB0_14
; %bb.13:
	v_lshlrev_b32_e32 v0, 4, v36
	s_delay_alu instid0(VALU_DEP_1)
	v_add3_u32 v0, 0, v0, v38
	ds_load_b128 v[0:3], v0
	ds_load_b128 v[4:7], v40 offset:2464
	ds_load_b128 v[32:35], v40 offset:3872
.LBB0_14:
	s_wait_alu 0xfffe
	s_or_b32 exec_lo, exec_lo, s1
	v_and_b32_e32 v78, 7, v88
	v_and_b32_e32 v79, 7, v37
	;; [unrolled: 1-line block ×3, first 2 shown]
	s_mov_b32 s4, 0xe8584caa
	s_mov_b32 s5, 0xbfebb67a
	v_lshlrev_b32_e32 v46, 5, v78
	v_lshlrev_b32_e32 v54, 5, v79
	;; [unrolled: 1-line block ×3, first 2 shown]
	s_mov_b32 s11, 0x3febb67a
	s_wait_alu 0xfffe
	s_mov_b32 s10, s4
	s_clause 0x5
	global_load_b128 v[42:45], v46, s[8:9]
	global_load_b128 v[46:49], v46, s[8:9] offset:16
	global_load_b128 v[50:53], v54, s[8:9]
	global_load_b128 v[54:57], v54, s[8:9] offset:16
	;; [unrolled: 2-line block ×3, first 2 shown]
	v_lshrrev_b32_e32 v37, 3, v37
	global_wb scope:SCOPE_SE
	s_wait_loadcnt_dscnt 0x0
	s_barrier_signal -1
	s_barrier_wait -1
	global_inv scope:SCOPE_SE
	v_mul_lo_u32 v37, v37, 24
	s_delay_alu instid0(VALU_DEP_1) | instskip(NEXT) | instid1(VALU_DEP_1)
	v_or_b32_e32 v37, v37, v79
	v_lshlrev_b32_e32 v37, 4, v37
	s_delay_alu instid0(VALU_DEP_1)
	v_add3_u32 v37, 0, v37, v38
	v_mul_f64_e32 v[70:71], v[18:19], v[52:53]
	v_mul_f64_e32 v[66:67], v[22:23], v[44:45]
	;; [unrolled: 1-line block ×12, first 2 shown]
	v_fma_f64 v[16:17], v[16:17], v[50:51], v[70:71]
	v_fma_f64 v[20:21], v[20:21], v[42:43], v[66:67]
	;; [unrolled: 1-line block ×3, first 2 shown]
	v_fma_f64 v[22:23], v[22:23], v[42:43], -v[44:45]
	v_fma_f64 v[26:27], v[26:27], v[46:47], -v[48:49]
	v_fma_f64 v[28:29], v[28:29], v[54:55], v[72:73]
	v_fma_f64 v[18:19], v[18:19], v[50:51], -v[52:53]
	v_fma_f64 v[30:31], v[30:31], v[54:55], -v[56:57]
	v_fma_f64 v[4:5], v[4:5], v[58:59], v[74:75]
	v_fma_f64 v[32:33], v[32:33], v[62:63], v[76:77]
	v_fma_f64 v[6:7], v[6:7], v[58:59], -v[60:61]
	v_fma_f64 v[34:35], v[34:35], v[62:63], -v[64:65]
	v_add_f64_e32 v[58:59], v[12:13], v[16:17]
	v_add_f64_e32 v[54:55], v[8:9], v[20:21]
	;; [unrolled: 1-line block ×3, first 2 shown]
	v_add_f64_e64 v[20:21], v[20:21], -v[24:25]
	v_add_f64_e32 v[44:45], v[22:23], v[26:27]
	v_add_f64_e32 v[46:47], v[16:17], v[28:29]
	v_add_f64_e64 v[56:57], v[22:23], -v[26:27]
	v_add_f64_e32 v[48:49], v[18:19], v[30:31]
	v_add_f64_e32 v[22:23], v[10:11], v[22:23]
	;; [unrolled: 1-line block ×7, first 2 shown]
	v_add_f64_e64 v[18:19], v[18:19], -v[30:31]
	v_add_f64_e64 v[66:67], v[16:17], -v[28:29]
	;; [unrolled: 1-line block ×4, first 2 shown]
	v_fma_f64 v[42:43], v[42:43], -0.5, v[8:9]
	v_add_f64_e32 v[8:9], v[58:59], v[28:29]
	v_fma_f64 v[44:45], v[44:45], -0.5, v[10:11]
	v_fma_f64 v[46:47], v[46:47], -0.5, v[12:13]
	;; [unrolled: 1-line block ×4, first 2 shown]
	v_add_f64_e32 v[0:1], v[54:55], v[24:25]
	v_fma_f64 v[52:53], v[52:53], -0.5, v[2:3]
	v_add_f64_e32 v[2:3], v[22:23], v[26:27]
	v_add_f64_e32 v[10:11], v[60:61], v[30:31]
	v_add_f64_e32 v[24:25], v[62:63], v[32:33]
	v_add_f64_e32 v[26:27], v[64:65], v[34:35]
	v_fma_f64 v[12:13], v[56:57], s[4:5], v[42:43]
	s_wait_alu 0xfffe
	v_fma_f64 v[4:5], v[56:57], s[10:11], v[42:43]
	v_fma_f64 v[14:15], v[20:21], s[10:11], v[44:45]
	;; [unrolled: 1-line block ×11, first 2 shown]
	v_lshrrev_b32_e32 v42, 3, v88
	s_delay_alu instid0(VALU_DEP_1) | instskip(NEXT) | instid1(VALU_DEP_1)
	v_mul_u32_u24_e32 v42, 24, v42
	v_or_b32_e32 v42, v42, v78
	s_delay_alu instid0(VALU_DEP_1) | instskip(NEXT) | instid1(VALU_DEP_1)
	v_lshlrev_b32_e32 v42, 4, v42
	v_add3_u32 v42, 0, v42, v38
	ds_store_b128 v42, v[0:3]
	ds_store_b128 v42, v[12:15] offset:128
	ds_store_b128 v42, v[4:7] offset:256
	ds_store_b128 v37, v[8:11]
	ds_store_b128 v37, v[16:19] offset:128
	ds_store_b128 v37, v[20:23] offset:256
	s_and_saveexec_b32 s1, s0
	s_cbranch_execz .LBB0_16
; %bb.15:
	v_lshrrev_b32_e32 v36, 3, v36
	s_delay_alu instid0(VALU_DEP_1) | instskip(NEXT) | instid1(VALU_DEP_1)
	v_mul_lo_u32 v36, v36, 24
	v_or_b32_e32 v36, v36, v39
	s_delay_alu instid0(VALU_DEP_1) | instskip(NEXT) | instid1(VALU_DEP_1)
	v_lshlrev_b32_e32 v36, 4, v36
	v_add3_u32 v36, 0, v36, v38
	ds_store_b128 v36, v[24:27]
	ds_store_b128 v36, v[28:31] offset:128
	ds_store_b128 v36, v[32:35] offset:256
.LBB0_16:
	s_wait_alu 0xfffe
	s_or_b32 exec_lo, exec_lo, s1
	v_cmp_gt_u32_e64 s0, 24, v88
	global_wb scope:SCOPE_SE
	s_wait_dscnt 0x0
	s_barrier_signal -1
	s_barrier_wait -1
	global_inv scope:SCOPE_SE
                                        ; implicit-def: $vgpr42_vgpr43
                                        ; implicit-def: $vgpr38_vgpr39
	s_and_saveexec_b32 s1, s0
	s_cbranch_execz .LBB0_18
; %bb.17:
	ds_load_b128 v[0:3], v41
	ds_load_b128 v[12:15], v40 offset:384
	ds_load_b128 v[4:7], v40 offset:768
	;; [unrolled: 1-line block ×10, first 2 shown]
.LBB0_18:
	s_wait_alu 0xfffe
	s_or_b32 exec_lo, exec_lo, s1
	v_cmp_gt_u32_e64 s1, 24, v88
	s_delay_alu instid0(VALU_DEP_1)
	s_and_b32 s1, vcc_lo, s1
	s_wait_alu 0xfffe
	s_and_saveexec_b32 s4, s1
	s_cbranch_execz .LBB0_20
; %bb.19:
	v_subrev_nc_u32_e32 v44, 24, v88
	v_dual_mov_b32 v45, 0 :: v_dual_add_nc_u32 v132, 0x48, v88
	v_or_b32_e32 v133, 0x60, v88
	v_mul_lo_u32 v111, s3, v86
	s_delay_alu instid0(VALU_DEP_4) | instskip(SKIP_3) | instid1(VALU_DEP_4)
	v_cndmask_b32_e64 v44, v44, v88, s0
	v_mul_lo_u32 v112, s2, v87
	v_mad_co_u64_u32 v[89:90], null, s2, v86, 0
	v_mad_co_u64_u32 v[99:100], null, s16, v133, 0
	v_mul_i32_i24_e32 v44, 10, v44
	v_add_nc_u32_e32 v129, 24, v88
	v_add_nc_u32_e32 v131, 48, v88
	;; [unrolled: 1-line block ×3, first 2 shown]
	v_mad_co_u64_u32 v[86:87], null, s16, v88, 0
	v_lshlrev_b64_e32 v[44:45], 4, v[44:45]
	v_mad_co_u64_u32 v[97:98], null, s16, v132, 0
	v_mad_co_u64_u32 v[91:92], null, s16, v129, 0
	;; [unrolled: 1-line block ×3, first 2 shown]
	s_delay_alu instid0(VALU_DEP_4)
	v_add_co_u32 v80, vcc_lo, s8, v44
	s_wait_alu 0xfffd
	v_add_co_ci_u32_e32 v81, vcc_lo, s9, v45, vcc_lo
	s_clause 0x9
	global_load_b128 v[60:63], v[80:81], off offset:256
	global_load_b128 v[56:59], v[80:81], off offset:320
	;; [unrolled: 1-line block ×10, first 2 shown]
	v_add_nc_u32_e32 v135, 0x90, v88
	v_add3_u32 v90, v90, v112, v111
	v_or_b32_e32 v137, 0xc0, v88
	v_add_nc_u32_e32 v138, 0xd8, v88
	v_lshlrev_b64_e32 v[84:85], 4, v[84:85]
	s_mov_b32 s15, 0x3fed1bb4
	s_mov_b32 s14, 0x8eee2c13
	v_mad_co_u64_u32 v[107:108], null, s16, v137, 0
	v_mad_co_u64_u32 v[109:110], null, s16, v138, 0
	s_mov_b32 s18, 0xbb3a28a1
	s_mov_b32 s20, 0xf8bb580b
	;; [unrolled: 1-line block ×20, first 2 shown]
	s_wait_alu 0xfffe
	s_mov_b32 s2, s24
	s_mov_b32 s12, 0x640f44db
	;; [unrolled: 1-line block ×4, first 2 shown]
	s_wait_loadcnt_dscnt 0x909
	v_mul_f64_e32 v[93:94], v[14:15], v[62:63]
	v_mul_f64_e32 v[62:63], v[12:13], v[62:63]
	s_wait_loadcnt_dscnt 0x805
	v_mul_f64_e32 v[113:114], v[22:23], v[58:59]
	s_wait_loadcnt 0x6
	v_mul_f64_e32 v[117:118], v[18:19], v[50:51]
	v_mul_f64_e32 v[50:51], v[16:17], v[50:51]
	s_wait_loadcnt_dscnt 0x503
	v_mul_f64_e32 v[119:120], v[30:31], v[46:47]
	s_wait_loadcnt_dscnt 0x400
	v_mul_f64_e32 v[121:122], v[42:43], v[66:67]
	v_mul_f64_e32 v[46:47], v[28:29], v[46:47]
	s_wait_loadcnt 0x2
	v_mul_f64_e32 v[125:126], v[6:7], v[78:79]
	v_mul_f64_e32 v[78:79], v[4:5], v[78:79]
	;; [unrolled: 1-line block ×8, first 2 shown]
	s_wait_loadcnt 0x0
	v_mul_f64_e32 v[127:128], v[38:39], v[82:83]
	v_mul_f64_e32 v[82:83], v[36:37], v[82:83]
	v_fma_f64 v[14:15], v[14:15], v[60:61], -v[62:63]
	v_fma_f64 v[60:61], v[12:13], v[60:61], v[93:94]
	v_dual_mov_b32 v12, v98 :: v_dual_mov_b32 v13, v100
	v_mad_co_u64_u32 v[101:102], null, s16, v134, 0
	v_add_nc_u32_e32 v136, 0xa8, v88
	v_mad_co_u64_u32 v[103:104], null, s16, v135, 0
	v_add_nc_u32_e32 v139, 0xf0, v88
	v_mad_co_u64_u32 v[87:88], null, s17, v88, v[87:88]
	v_lshlrev_b64_e32 v[88:89], 4, v[89:90]
	v_mov_b32_e32 v90, v92
	v_mov_b32_e32 v92, v96
	v_dual_mov_b32 v94, v104 :: v_dual_mov_b32 v93, v102
	v_mul_f64_e32 v[62:63], v[34:35], v[74:75]
	s_delay_alu instid0(VALU_DEP_4) | instskip(SKIP_1) | instid1(VALU_DEP_4)
	v_mad_co_u64_u32 v[129:130], null, s17, v129, v[90:91]
	v_mul_f64_e32 v[74:75], v[32:33], v[74:75]
	v_mad_co_u64_u32 v[130:131], null, s17, v131, v[92:93]
	v_mad_co_u64_u32 v[131:132], null, s17, v132, v[12:13]
	v_fma_f64 v[16:17], v[16:17], v[48:49], v[117:118]
	v_fma_f64 v[18:19], v[18:19], v[48:49], -v[50:51]
	v_fma_f64 v[28:29], v[28:29], v[44:45], v[119:120]
	v_fma_f64 v[30:31], v[30:31], v[44:45], -v[46:47]
	v_fma_f64 v[44:45], v[6:7], v[76:77], -v[78:79]
	v_fma_f64 v[20:21], v[20:21], v[56:57], v[113:114]
	v_fma_f64 v[22:23], v[22:23], v[56:57], -v[58:59]
	v_fma_f64 v[24:25], v[24:25], v[52:53], v[115:116]
	;; [unrolled: 2-line block ×3, first 2 shown]
	v_fma_f64 v[10:11], v[10:11], v[68:69], -v[70:71]
	v_mad_co_u64_u32 v[105:106], null, s16, v136, 0
	v_mad_co_u64_u32 v[132:133], null, s17, v133, v[13:14]
	v_fma_f64 v[12:13], v[40:41], v[64:65], v[121:122]
	v_fma_f64 v[40:41], v[4:5], v[76:77], v[125:126]
	v_add_f64_e32 v[46:47], v[2:3], v[14:15]
	v_add_f64_e32 v[48:49], v[0:1], v[60:61]
	v_fma_f64 v[4:5], v[42:43], v[64:65], -v[66:67]
	v_mad_co_u64_u32 v[111:112], null, s16, v139, 0
	v_mov_b32_e32 v96, v106
	v_mov_b32_e32 v98, v108
	v_mad_co_u64_u32 v[50:51], null, s17, v135, v[94:95]
	v_mov_b32_e32 v100, v110
	s_delay_alu instid0(VALU_DEP_4) | instskip(NEXT) | instid1(VALU_DEP_4)
	v_mad_co_u64_u32 v[42:43], null, s17, v136, v[96:97]
	v_mad_co_u64_u32 v[51:52], null, s17, v137, v[98:99]
	v_fma_f64 v[32:33], v[32:33], v[72:73], v[62:63]
	v_add_co_u32 v6, vcc_lo, s6, v88
	v_fma_f64 v[34:35], v[34:35], v[72:73], -v[74:75]
	v_mov_b32_e32 v102, v112
	s_wait_alu 0xfffd
	v_add_co_ci_u32_e32 v43, vcc_lo, s7, v89, vcc_lo
	v_mov_b32_e32 v92, v129
	v_mov_b32_e32 v96, v130
	v_mad_co_u64_u32 v[52:53], null, s17, v138, v[100:101]
	v_add_co_u32 v7, vcc_lo, v6, v84
	v_mad_co_u64_u32 v[53:54], null, s17, v139, v[102:103]
	v_mad_co_u64_u32 v[133:134], null, s17, v134, v[93:94]
	s_wait_alu 0xfffd
	v_add_co_ci_u32_e32 v6, vcc_lo, v43, v85, vcc_lo
	v_add_f64_e64 v[54:55], v[16:17], -v[28:29]
	v_add_f64_e64 v[58:59], v[18:19], -v[30:31]
	;; [unrolled: 1-line block ×4, first 2 shown]
	v_mov_b32_e32 v106, v42
	v_add_f64_e32 v[46:47], v[44:45], v[46:47]
	v_add_f64_e32 v[48:49], v[40:41], v[48:49]
	v_lshlrev_b64_e32 v[68:69], 4, v[91:92]
	v_lshlrev_b64_e32 v[74:75], 4, v[95:96]
	v_fma_f64 v[36:37], v[36:37], v[80:81], v[127:128]
	v_fma_f64 v[38:39], v[38:39], v[80:81], -v[82:83]
	v_add_f64_e64 v[56:57], v[60:61], -v[12:13]
	v_mov_b32_e32 v104, v50
	v_mov_b32_e32 v108, v51
	v_add_f64_e64 v[50:51], v[14:15], -v[4:5]
	v_mov_b32_e32 v110, v52
	v_mov_b32_e32 v112, v53
	;; [unrolled: 1-line block ×4, first 2 shown]
	v_add_f64_e64 v[66:67], v[8:9], -v[32:33]
	v_add_f64_e32 v[94:95], v[8:9], v[32:33]
	v_lshlrev_b64_e32 v[52:53], 4, v[86:87]
	v_add_f64_e64 v[42:43], v[10:11], -v[34:35]
	v_add_f64_e32 v[92:93], v[10:11], v[34:35]
	v_lshlrev_b64_e32 v[82:83], 4, v[103:104]
	v_lshlrev_b64_e32 v[84:85], 4, v[105:106]
	;; [unrolled: 1-line block ×5, first 2 shown]
	v_add_f64_e32 v[14:15], v[14:15], v[4:5]
	v_add_f64_e32 v[60:61], v[60:61], v[12:13]
	v_lshlrev_b64_e32 v[76:77], 4, v[97:98]
	v_lshlrev_b64_e32 v[78:79], 4, v[99:100]
	v_add_f64_e32 v[96:97], v[18:19], v[30:31]
	v_add_f64_e32 v[98:99], v[16:17], v[28:29]
	v_mov_b32_e32 v102, v133
	v_add_co_u32 v52, vcc_lo, v7, v52
	v_mul_f64_e32 v[104:105], s[14:15], v[54:55]
	v_mul_f64_e32 v[108:109], s[14:15], v[58:59]
	;; [unrolled: 1-line block ×4, first 2 shown]
	v_lshlrev_b64_e32 v[80:81], 4, v[101:102]
	v_add_f64_e32 v[10:11], v[10:11], v[46:47]
	v_add_f64_e32 v[8:9], v[8:9], v[48:49]
	;; [unrolled: 1-line block ×4, first 2 shown]
	v_add_f64_e64 v[70:71], v[40:41], -v[36:37]
	v_add_f64_e64 v[72:73], v[44:45], -v[38:39]
	v_mul_f64_e32 v[106:107], s[24:25], v[56:57]
	v_mul_f64_e32 v[112:113], s[18:19], v[56:57]
	;; [unrolled: 1-line block ×9, first 2 shown]
	v_add_f64_e32 v[44:45], v[44:45], v[38:39]
	v_add_f64_e32 v[40:41], v[40:41], v[36:37]
	v_mul_f64_e32 v[116:117], s[14:15], v[42:43]
	s_mov_b32 s15, 0xbfed1bb4
	v_mul_f64_e32 v[132:133], s[18:19], v[66:67]
	v_mul_f64_e32 v[134:135], s[18:19], v[42:43]
	;; [unrolled: 1-line block ×6, first 2 shown]
	s_wait_alu 0xfffe
	v_mul_f64_e32 v[66:67], s[2:3], v[66:67]
	v_mul_f64_e32 v[42:43], s[2:3], v[42:43]
	;; [unrolled: 1-line block ×10, first 2 shown]
	v_fma_f64 v[200:201], v[96:97], s[10:11], v[104:105]
	v_fma_f64 v[202:203], v[98:99], s[10:11], -v[108:109]
	v_fma_f64 v[104:105], v[96:97], s[10:11], -v[104:105]
	v_add_f64_e32 v[10:11], v[18:19], v[10:11]
	v_add_f64_e32 v[8:9], v[16:17], v[8:9]
	v_mul_f64_e32 v[16:17], s[14:15], v[56:57]
	v_mul_f64_e32 v[18:19], s[14:15], v[50:51]
	;; [unrolled: 1-line block ×12, first 2 shown]
	v_fma_f64 v[176:177], v[14:15], s[0:1], v[106:107]
	v_fma_f64 v[106:107], v[14:15], s[0:1], -v[106:107]
	v_fma_f64 v[178:179], v[14:15], s[4:5], v[112:113]
	v_fma_f64 v[112:113], v[14:15], s[4:5], -v[112:113]
	;; [unrolled: 2-line block ×3, first 2 shown]
	v_fma_f64 v[184:185], v[60:61], s[0:1], -v[120:121]
	v_fma_f64 v[120:121], v[60:61], s[0:1], v[120:121]
	v_fma_f64 v[190:191], v[60:61], s[8:9], -v[126:127]
	v_fma_f64 v[126:127], v[60:61], s[8:9], v[126:127]
	v_fma_f64 v[180:181], v[14:15], s[12:13], v[48:49]
	v_fma_f64 v[48:49], v[14:15], s[12:13], -v[48:49]
	v_fma_f64 v[188:189], v[60:61], s[12:13], -v[124:125]
	v_fma_f64 v[124:125], v[60:61], s[12:13], v[124:125]
	v_fma_f64 v[186:187], v[60:61], s[4:5], -v[122:123]
	v_fma_f64 v[122:123], v[60:61], s[4:5], v[122:123]
	v_fma_f64 v[196:197], v[92:93], s[4:5], v[132:133]
	v_fma_f64 v[198:199], v[94:95], s[4:5], -v[134:135]
	v_fma_f64 v[132:133], v[92:93], s[4:5], -v[132:133]
	v_fma_f64 v[134:135], v[94:95], s[4:5], v[134:135]
	v_mul_f64_e32 v[56:57], s[28:29], v[58:59]
	v_fma_f64 v[220:221], v[94:95], s[0:1], -v[42:43]
	v_fma_f64 v[42:43], v[94:95], s[0:1], v[42:43]
	v_mul_f64_e32 v[50:51], s[26:27], v[58:59]
	v_add_f64_e32 v[10:11], v[22:23], v[10:11]
	v_add_f64_e32 v[8:9], v[20:21], v[8:9]
	v_fma_f64 v[20:21], v[14:15], s[10:11], -v[16:17]
	v_fma_f64 v[22:23], v[60:61], s[10:11], v[18:19]
	v_fma_f64 v[14:15], v[14:15], s[10:11], v[16:17]
	v_fma_f64 v[16:17], v[60:61], s[10:11], -v[18:19]
	v_fma_f64 v[192:193], v[44:45], s[8:9], v[128:129]
	v_fma_f64 v[194:195], v[40:41], s[8:9], -v[130:131]
	v_fma_f64 v[128:129], v[44:45], s[8:9], -v[128:129]
	v_fma_f64 v[130:131], v[40:41], s[8:9], v[130:131]
	v_fma_f64 v[18:19], v[44:45], s[12:13], v[140:141]
	v_fma_f64 v[140:141], v[44:45], s[12:13], -v[140:141]
	v_fma_f64 v[208:209], v[44:45], s[0:1], v[168:169]
	v_fma_f64 v[168:169], v[44:45], s[0:1], -v[168:169]
	;; [unrolled: 2-line block ×3, first 2 shown]
	v_fma_f64 v[216:217], v[44:45], s[10:11], -v[70:71]
	v_fma_f64 v[218:219], v[40:41], s[10:11], v[72:73]
	v_fma_f64 v[44:45], v[44:45], s[10:11], v[70:71]
	v_add_f64_e32 v[70:71], v[2:3], v[176:177]
	v_add_f64_e32 v[106:107], v[2:3], v[106:107]
	;; [unrolled: 1-line block ×7, first 2 shown]
	v_fma_f64 v[214:215], v[40:41], s[4:5], -v[174:175]
	v_fma_f64 v[174:175], v[40:41], s[4:5], v[174:175]
	v_fma_f64 v[212:213], v[40:41], s[0:1], -v[172:173]
	v_fma_f64 v[172:173], v[40:41], s[0:1], v[172:173]
	v_add_f64_e32 v[48:49], v[2:3], v[48:49]
	v_fma_f64 v[60:61], v[40:41], s[12:13], -v[142:143]
	v_fma_f64 v[142:143], v[40:41], s[12:13], v[142:143]
	v_add_f64_e32 v[178:179], v[0:1], v[186:187]
	v_add_f64_e32 v[122:123], v[0:1], v[122:123]
	v_fma_f64 v[40:41], v[40:41], s[10:11], -v[72:73]
	v_add_f64_e32 v[72:73], v[0:1], v[184:185]
	v_fma_f64 v[184:185], v[92:93], s[12:13], -v[152:153]
	v_add_f64_e32 v[10:11], v[26:27], v[10:11]
	v_add_f64_e32 v[8:9], v[24:25], v[8:9]
	;; [unrolled: 1-line block ×11, first 2 shown]
	v_fma_f64 v[14:15], v[92:93], s[8:9], v[144:145]
	v_fma_f64 v[144:145], v[92:93], s[8:9], -v[144:145]
	v_fma_f64 v[186:187], v[94:95], s[12:13], v[154:155]
	v_fma_f64 v[190:191], v[92:93], s[0:1], v[66:67]
	v_fma_f64 v[66:67], v[92:93], s[0:1], -v[66:67]
	v_fma_f64 v[188:189], v[92:93], s[10:11], v[46:47]
	v_fma_f64 v[46:47], v[92:93], s[10:11], -v[46:47]
	;; [unrolled: 2-line block ×3, first 2 shown]
	v_add_f64_e32 v[106:107], v[128:129], v[106:107]
	v_add_f64_e32 v[120:121], v[130:131], v[120:121]
	v_add_f64_e32 v[18:19], v[18:19], v[176:177]
	v_add_f64_e32 v[112:113], v[140:141], v[112:113]
	v_add_f64_e32 v[118:119], v[216:217], v[118:119]
	v_add_f64_e32 v[126:127], v[218:219], v[126:127]
	v_fma_f64 v[116:117], v[94:95], s[10:11], v[116:117]
	v_fma_f64 v[16:17], v[94:95], s[8:9], -v[146:147]
	v_fma_f64 v[146:147], v[94:95], s[8:9], v[146:147]
	v_add_f64_e32 v[70:71], v[192:193], v[70:71]
	v_add_f64_e32 v[48:49], v[168:169], v[48:49]
	v_fma_f64 v[94:95], v[94:95], s[12:13], -v[154:155]
	v_fma_f64 v[108:109], v[98:99], s[10:11], v[108:109]
	v_add_f64_e32 v[60:61], v[60:61], v[178:179]
	v_add_f64_e32 v[122:123], v[142:143], v[122:123]
	v_fma_f64 v[140:141], v[96:97], s[4:5], -v[156:157]
	v_add_f64_e32 v[72:73], v[194:195], v[72:73]
	v_fma_f64 v[142:143], v[98:99], s[4:5], v[158:159]
	v_add_f64_e32 v[10:11], v[30:31], v[10:11]
	v_add_f64_e32 v[8:9], v[28:29], v[8:9]
	;; [unrolled: 1-line block ×11, first 2 shown]
	v_mul_f64_e32 v[136:137], s[22:23], v[62:63]
	v_mul_f64_e32 v[138:139], s[22:23], v[64:65]
	;; [unrolled: 1-line block ×6, first 2 shown]
	v_fma_f64 v[44:45], v[96:97], s[0:1], v[148:149]
	v_fma_f64 v[124:125], v[98:99], s[0:1], -v[150:151]
	v_fma_f64 v[128:129], v[96:97], s[0:1], -v[148:149]
	v_add_f64_e32 v[106:107], v[132:133], v[106:107]
	v_add_f64_e32 v[120:121], v[134:135], v[120:121]
	;; [unrolled: 1-line block ×6, first 2 shown]
	v_fma_f64 v[130:131], v[98:99], s[0:1], v[150:151]
	v_fma_f64 v[148:149], v[96:97], s[8:9], v[166:167]
	v_fma_f64 v[150:151], v[96:97], s[8:9], -v[166:167]
	v_fma_f64 v[154:155], v[96:97], s[12:13], v[54:55]
	v_fma_f64 v[54:55], v[96:97], s[12:13], -v[54:55]
	v_fma_f64 v[166:167], v[98:99], s[12:13], -v[56:57]
	v_fma_f64 v[56:57], v[98:99], s[12:13], v[56:57]
	v_fma_f64 v[96:97], v[96:97], s[4:5], v[156:157]
	v_fma_f64 v[156:157], v[98:99], s[8:9], -v[50:51]
	v_fma_f64 v[50:51], v[98:99], s[8:9], v[50:51]
	v_add_f64_e32 v[46:47], v[46:47], v[48:49]
	v_add_f64_e32 v[16:17], v[16:17], v[60:61]
	;; [unrolled: 1-line block ×14, first 2 shown]
	v_fma_f64 v[98:99], v[98:99], s[4:5], -v[158:159]
	v_add_f64_e32 v[30:31], v[92:93], v[30:31]
	v_add_f64_e32 v[32:33], v[94:95], v[40:41]
	v_fma_f64 v[66:67], v[100:101], s[0:1], -v[160:161]
	v_fma_f64 v[92:93], v[102:103], s[0:1], v[162:163]
	v_fma_f64 v[34:35], v[100:101], s[10:11], v[110:111]
	v_fma_f64 v[40:41], v[102:103], s[10:11], -v[114:115]
	v_fma_f64 v[48:49], v[102:103], s[10:11], v[114:115]
	v_add_f64_e32 v[104:105], v[104:105], v[106:107]
	v_add_f64_e32 v[106:107], v[108:109], v[120:121]
	v_fma_f64 v[114:115], v[100:101], s[8:9], v[62:63]
	v_fma_f64 v[62:63], v[100:101], s[8:9], -v[62:63]
	v_add_f64_e32 v[108:109], v[140:141], v[112:113]
	v_add_f64_e32 v[112:113], v[142:143], v[118:119]
	v_fma_f64 v[122:123], v[102:103], s[8:9], -v[64:65]
	v_fma_f64 v[64:65], v[102:103], s[8:9], v[64:65]
	v_add_f64_e32 v[14:15], v[44:45], v[14:15]
	v_fma_f64 v[42:43], v[100:101], s[10:11], -v[110:111]
	v_fma_f64 v[110:111], v[100:101], s[4:5], -v[164:165]
	;; [unrolled: 1-line block ×3, first 2 shown]
	v_fma_f64 v[58:59], v[102:103], s[4:5], v[58:59]
	v_add_f64_e32 v[18:19], v[128:129], v[18:19]
	v_fma_f64 v[204:205], v[100:101], s[12:13], v[136:137]
	v_fma_f64 v[206:207], v[102:103], s[12:13], -v[138:139]
	v_add_f64_e32 v[46:47], v[150:151], v[46:47]
	v_fma_f64 v[136:137], v[100:101], s[12:13], -v[136:137]
	v_add_f64_e32 v[38:39], v[38:39], v[10:11]
	v_add_f64_e32 v[36:37], v[36:37], v[8:9]
	;; [unrolled: 1-line block ×6, first 2 shown]
	v_fma_f64 v[138:139], v[102:103], s[12:13], v[138:139]
	v_add_f64_e32 v[70:71], v[200:201], v[70:71]
	v_add_f64_e32 v[72:73], v[202:203], v[72:73]
	;; [unrolled: 1-line block ×3, first 2 shown]
	v_fma_f64 v[94:95], v[100:101], s[4:5], v[164:165]
	v_add_f64_e32 v[118:119], v[148:149], v[26:27]
	v_add_f64_e32 v[120:121], v[156:157], v[28:29]
	v_add_f64_e32 v[124:125], v[154:155], v[2:3]
	v_add_f64_e32 v[126:127], v[166:167], v[0:1]
	v_fma_f64 v[100:101], v[100:101], s[0:1], v[160:161]
	v_fma_f64 v[102:103], v[102:103], s[0:1], -v[162:163]
	v_add_f64_e32 v[96:97], v[96:97], v[30:31]
	v_add_f64_e32 v[98:99], v[98:99], v[32:33]
	s_wait_alu 0xfffd
	v_add_co_ci_u32_e32 v53, vcc_lo, v6, v53, vcc_lo
	v_add_co_u32 v68, vcc_lo, v7, v68
	s_wait_alu 0xfffd
	v_add_co_ci_u32_e32 v69, vcc_lo, v6, v69, vcc_lo
	v_add_f64_e32 v[24:25], v[66:67], v[108:109]
	v_add_f64_e32 v[22:23], v[92:93], v[112:113]
	v_add_co_u32 v74, vcc_lo, v7, v74
	v_add_f64_e32 v[16:17], v[34:35], v[14:15]
	s_wait_alu 0xfffd
	v_add_co_ci_u32_e32 v75, vcc_lo, v6, v75, vcc_lo
	v_add_co_u32 v76, vcc_lo, v7, v76
	v_add_f64_e32 v[20:21], v[42:43], v[18:19]
	s_wait_alu 0xfffd
	v_add_co_ci_u32_e32 v77, vcc_lo, v6, v77, vcc_lo
	v_add_f64_e32 v[28:29], v[110:111], v[46:47]
	v_add_f64_e32 v[32:33], v[4:5], v[38:39]
	;; [unrolled: 1-line block ×16, first 2 shown]
	v_add_co_u32 v4, vcc_lo, v7, v78
	v_add_f64_e32 v[44:45], v[100:101], v[96:97]
	v_add_f64_e32 v[42:43], v[102:103], v[98:99]
	s_wait_alu 0xfffd
	v_add_co_ci_u32_e32 v5, vcc_lo, v6, v79, vcc_lo
	v_add_co_u32 v12, vcc_lo, v7, v80
	s_wait_alu 0xfffd
	v_add_co_ci_u32_e32 v13, vcc_lo, v6, v81, vcc_lo
	v_add_co_u32 v50, vcc_lo, v7, v82
	;; [unrolled: 3-line block ×6, first 2 shown]
	s_wait_alu 0xfffd
	v_add_co_ci_u32_e32 v61, vcc_lo, v6, v91, vcc_lo
	s_clause 0xa
	global_store_b128 v[52:53], v[30:33], off
	global_store_b128 v[68:69], v[22:25], off
	global_store_b128 v[74:75], v[34:37], off
	global_store_b128 v[76:77], v[26:29], off
	global_store_b128 v[4:5], v[18:21], off
	global_store_b128 v[12:13], v[8:11], off
	global_store_b128 v[50:51], v[0:3], off
	global_store_b128 v[54:55], v[14:17], off
	global_store_b128 v[56:57], v[38:41], off
	global_store_b128 v[58:59], v[46:49], off
	global_store_b128 v[60:61], v[42:45], off
.LBB0_20:
	s_nop 0
	s_sendmsg sendmsg(MSG_DEALLOC_VGPRS)
	s_endpgm
	.section	.rodata,"a",@progbits
	.p2align	6, 0x0
	.amdhsa_kernel fft_rtc_back_len264_factors_8_3_11_wgs_231_tpt_33_dp_op_CI_CI_sbrr_dirReg
		.amdhsa_group_segment_fixed_size 0
		.amdhsa_private_segment_fixed_size 0
		.amdhsa_kernarg_size 104
		.amdhsa_user_sgpr_count 2
		.amdhsa_user_sgpr_dispatch_ptr 0
		.amdhsa_user_sgpr_queue_ptr 0
		.amdhsa_user_sgpr_kernarg_segment_ptr 1
		.amdhsa_user_sgpr_dispatch_id 0
		.amdhsa_user_sgpr_private_segment_size 0
		.amdhsa_wavefront_size32 1
		.amdhsa_uses_dynamic_stack 0
		.amdhsa_enable_private_segment 0
		.amdhsa_system_sgpr_workgroup_id_x 1
		.amdhsa_system_sgpr_workgroup_id_y 0
		.amdhsa_system_sgpr_workgroup_id_z 0
		.amdhsa_system_sgpr_workgroup_info 0
		.amdhsa_system_vgpr_workitem_id 0
		.amdhsa_next_free_vgpr 222
		.amdhsa_next_free_sgpr 43
		.amdhsa_reserve_vcc 1
		.amdhsa_float_round_mode_32 0
		.amdhsa_float_round_mode_16_64 0
		.amdhsa_float_denorm_mode_32 3
		.amdhsa_float_denorm_mode_16_64 3
		.amdhsa_fp16_overflow 0
		.amdhsa_workgroup_processor_mode 1
		.amdhsa_memory_ordered 1
		.amdhsa_forward_progress 0
		.amdhsa_round_robin_scheduling 0
		.amdhsa_exception_fp_ieee_invalid_op 0
		.amdhsa_exception_fp_denorm_src 0
		.amdhsa_exception_fp_ieee_div_zero 0
		.amdhsa_exception_fp_ieee_overflow 0
		.amdhsa_exception_fp_ieee_underflow 0
		.amdhsa_exception_fp_ieee_inexact 0
		.amdhsa_exception_int_div_zero 0
	.end_amdhsa_kernel
	.text
.Lfunc_end0:
	.size	fft_rtc_back_len264_factors_8_3_11_wgs_231_tpt_33_dp_op_CI_CI_sbrr_dirReg, .Lfunc_end0-fft_rtc_back_len264_factors_8_3_11_wgs_231_tpt_33_dp_op_CI_CI_sbrr_dirReg
                                        ; -- End function
	.section	.AMDGPU.csdata,"",@progbits
; Kernel info:
; codeLenInByte = 6800
; NumSgprs: 45
; NumVgprs: 222
; ScratchSize: 0
; MemoryBound: 1
; FloatMode: 240
; IeeeMode: 1
; LDSByteSize: 0 bytes/workgroup (compile time only)
; SGPRBlocks: 5
; VGPRBlocks: 27
; NumSGPRsForWavesPerEU: 45
; NumVGPRsForWavesPerEU: 222
; Occupancy: 6
; WaveLimiterHint : 1
; COMPUTE_PGM_RSRC2:SCRATCH_EN: 0
; COMPUTE_PGM_RSRC2:USER_SGPR: 2
; COMPUTE_PGM_RSRC2:TRAP_HANDLER: 0
; COMPUTE_PGM_RSRC2:TGID_X_EN: 1
; COMPUTE_PGM_RSRC2:TGID_Y_EN: 0
; COMPUTE_PGM_RSRC2:TGID_Z_EN: 0
; COMPUTE_PGM_RSRC2:TIDIG_COMP_CNT: 0
	.text
	.p2alignl 7, 3214868480
	.fill 96, 4, 3214868480
	.type	__hip_cuid_855e2bc1377e8c93,@object ; @__hip_cuid_855e2bc1377e8c93
	.section	.bss,"aw",@nobits
	.globl	__hip_cuid_855e2bc1377e8c93
__hip_cuid_855e2bc1377e8c93:
	.byte	0                               ; 0x0
	.size	__hip_cuid_855e2bc1377e8c93, 1

	.ident	"AMD clang version 19.0.0git (https://github.com/RadeonOpenCompute/llvm-project roc-6.4.0 25133 c7fe45cf4b819c5991fe208aaa96edf142730f1d)"
	.section	".note.GNU-stack","",@progbits
	.addrsig
	.addrsig_sym __hip_cuid_855e2bc1377e8c93
	.amdgpu_metadata
---
amdhsa.kernels:
  - .args:
      - .actual_access:  read_only
        .address_space:  global
        .offset:         0
        .size:           8
        .value_kind:     global_buffer
      - .offset:         8
        .size:           8
        .value_kind:     by_value
      - .actual_access:  read_only
        .address_space:  global
        .offset:         16
        .size:           8
        .value_kind:     global_buffer
      - .actual_access:  read_only
        .address_space:  global
        .offset:         24
        .size:           8
        .value_kind:     global_buffer
      - .actual_access:  read_only
        .address_space:  global
        .offset:         32
        .size:           8
        .value_kind:     global_buffer
      - .offset:         40
        .size:           8
        .value_kind:     by_value
      - .actual_access:  read_only
        .address_space:  global
        .offset:         48
        .size:           8
        .value_kind:     global_buffer
      - .actual_access:  read_only
        .address_space:  global
        .offset:         56
        .size:           8
        .value_kind:     global_buffer
      - .offset:         64
        .size:           4
        .value_kind:     by_value
      - .actual_access:  read_only
        .address_space:  global
        .offset:         72
        .size:           8
        .value_kind:     global_buffer
      - .actual_access:  read_only
        .address_space:  global
        .offset:         80
        .size:           8
        .value_kind:     global_buffer
      - .actual_access:  read_only
        .address_space:  global
        .offset:         88
        .size:           8
        .value_kind:     global_buffer
      - .actual_access:  write_only
        .address_space:  global
        .offset:         96
        .size:           8
        .value_kind:     global_buffer
    .group_segment_fixed_size: 0
    .kernarg_segment_align: 8
    .kernarg_segment_size: 104
    .language:       OpenCL C
    .language_version:
      - 2
      - 0
    .max_flat_workgroup_size: 231
    .name:           fft_rtc_back_len264_factors_8_3_11_wgs_231_tpt_33_dp_op_CI_CI_sbrr_dirReg
    .private_segment_fixed_size: 0
    .sgpr_count:     45
    .sgpr_spill_count: 0
    .symbol:         fft_rtc_back_len264_factors_8_3_11_wgs_231_tpt_33_dp_op_CI_CI_sbrr_dirReg.kd
    .uniform_work_group_size: 1
    .uses_dynamic_stack: false
    .vgpr_count:     222
    .vgpr_spill_count: 0
    .wavefront_size: 32
    .workgroup_processor_mode: 1
amdhsa.target:   amdgcn-amd-amdhsa--gfx1201
amdhsa.version:
  - 1
  - 2
...

	.end_amdgpu_metadata
